;; amdgpu-corpus repo=ROCm/bitsandbytes kind=harvested arch=n/a opt=n/a
	.text
	.amdgcn_target "amdgcn-amd-amdhsa--gfx1100"
	.amdhsa_code_object_version 6
	.protected	_Z35kOptimizerStatic8bit1StateBlockwiseIfLi4ELi256ELi1EEvPT_S1_PhfffifPfS3_ffbi ; -- Begin function _Z35kOptimizerStatic8bit1StateBlockwiseIfLi4ELi256ELi1EEvPT_S1_PhfffifPfS3_ffbi
	.globl	_Z35kOptimizerStatic8bit1StateBlockwiseIfLi4ELi256ELi1EEvPT_S1_PhfffifPfS3_ffbi
	.p2align	8
	.type	_Z35kOptimizerStatic8bit1StateBlockwiseIfLi4ELi256ELi1EEvPT_S1_PhfffifPfS3_ffbi,@function
_Z35kOptimizerStatic8bit1StateBlockwiseIfLi4ELi256ELi1EEvPT_S1_PhfffifPfS3_ffbi: ; @_Z35kOptimizerStatic8bit1StateBlockwiseIfLi4ELi256ELi1EEvPT_S1_PhfffifPfS3_ffbi
; %bb.0:
	s_clause 0x1
	s_load_b64 s[2:3], s[0:1], 0x30
	s_load_b32 s4, s[0:1], 0x50
	v_lshlrev_b32_e32 v1, 2, v0
	s_lshl_b32 s16, s15, 8
	s_waitcnt lgkmcnt(0)
	global_load_b32 v2, v1, s[2:3]
	s_lshl_b32 s22, s4, 8
	s_waitcnt vmcnt(0)
	ds_store_b32 v1, v2
	ds_store_b32 v1, v2 offset:1028
	s_cmp_ge_u32 s16, s22
	s_waitcnt lgkmcnt(0)
	s_barrier
	buffer_gl0_inv
	s_cbranch_scc1 .LBB177_43
; %bb.1:
	s_clause 0x4
	s_load_b128 s[8:11], s[0:1], 0x40
	s_load_b128 s[12:15], s[0:1], 0x0
	s_load_b32 s23, s[0:1], 0x20
	s_load_b32 s24, s[0:1], 0x28
	s_load_b64 s[18:19], s[0:1], 0x38
	v_mbcnt_lo_u32_b32 v4, -1, 0
	v_and_b32_e32 v5, 0xe0, v0
	v_lshrrev_b32_e32 v13, 3, v0
	s_load_b64 s[20:21], s[0:1], 0x10
	v_dual_mov_b32 v6, 0 :: v_dual_and_b32 v3, 1, v0
	v_lshlrev_b32_e32 v10, 2, v4
	v_lshlrev_b32_e32 v11, 2, v5
	v_dual_mov_b32 v13, 0x7c :: v_dual_and_b32 v14, 28, v13
	v_and_b32_e32 v15, 7, v4
	v_mul_u32_u24_e32 v7, 0x404, v3
	ds_load_2addr_b32 v[1:2], v7 offset0:63 offset1:127
	ds_load_b32 v9, v7 offset:764
	s_waitcnt lgkmcnt(0)
	v_add_co_u32 v10, s0, s14, v10
	s_delay_alu instid0(VALU_DEP_1) | instskip(SKIP_1) | instid1(VALU_DEP_3)
	v_add_co_ci_u32_e64 v12, null, s15, 0, s0
	v_or_b32_e32 v8, v4, v5
	v_add_co_u32 v10, vcc_lo, v10, v11
	s_delay_alu instid0(VALU_DEP_3)
	v_add_co_ci_u32_e32 v11, vcc_lo, 0, v12, vcc_lo
	v_cmp_gt_u32_e32 vcc_lo, 6, v15
	s_bitcmp1_b32 s10, 0
	v_lshl_add_u32 v12, v8, 2, 0x810
	v_cmp_gt_f32_e64 s0, s8, 0
	v_cmp_eq_u32_e64 s1, 0, v4
	v_cndmask_b32_e64 v16, 0, 1, vcc_lo
	v_cmp_gt_u32_e32 vcc_lo, 4, v15
	v_add_nc_u32_e32 v14, 0xc10, v14
	v_cmp_gt_u32_e64 s2, 32, v0
	v_cmp_eq_u32_e64 s3, 0, v0
	v_lshlrev_b32_e32 v19, 1, v16
	v_cndmask_b32_e64 v17, 0, 1, vcc_lo
	v_cmp_ne_u32_e32 vcc_lo, 7, v15
	v_lshl_add_u32 v15, v15, 2, 0xc10
	v_cmp_ne_u32_e64 s4, 0, v0
	v_lshlrev_b32_e32 v0, 2, v4
	v_lshlrev_b32_e32 v20, 2, v17
	v_add_co_ci_u32_e32 v18, vcc_lo, 0, v4, vcc_lo
	v_add_lshl_u32 v17, v19, v4, 2
	v_lshlrev_b32_e32 v19, 2, v5
	s_cselect_b32 s5, -1, 0
	s_delay_alu instid0(VALU_DEP_3)
	v_lshlrev_b32_e32 v16, 2, v18
	v_add_lshl_u32 v18, v20, v4, 2
	v_mov_b32_e32 v20, 0xff
	s_mov_b32 s17, 0
	s_sub_i32 s10, s11, s16
	s_xor_b32 s11, s5, -1
                                        ; implicit-def: $vgpr21
	s_branch .LBB177_3
.LBB177_2:                              ;   in Loop: Header=BB177_3 Depth=1
	s_or_b32 exec_lo, exec_lo, s6
	v_add_co_u32 v22, s5, s16, s22
	s_delay_alu instid0(VALU_DEP_1) | instskip(SKIP_1) | instid1(VALU_DEP_1)
	s_and_not1_b32 vcc_lo, exec_lo, s5
	s_sub_i32 s10, s10, s22
	v_readfirstlane_b32 s16, v22
	s_cbranch_vccnz .LBB177_43
.LBB177_3:                              ; =>This Inner Loop Header: Depth=1
	s_min_u32 s5, s10, 0x100
	v_mov_b32_e32 v22, 0
	v_cmp_gt_u32_e64 s5, s5, v8
	s_waitcnt lgkmcnt(0)
	s_waitcnt_vscnt null, 0x0
	s_barrier
	buffer_gl0_inv
	s_and_saveexec_b32 s6, s5
	s_cbranch_execz .LBB177_5
; %bb.4:                                ;   in Loop: Header=BB177_3 Depth=1
	s_lshl_b64 s[14:15], s[16:17], 2
	s_delay_alu instid0(SALU_CYCLE_1)
	v_add_co_u32 v22, vcc_lo, v10, s14
	v_add_co_ci_u32_e32 v23, vcc_lo, s15, v11, vcc_lo
	global_load_b32 v22, v[22:23], off
.LBB177_5:                              ;   in Loop: Header=BB177_3 Depth=1
	s_or_b32 exec_lo, exec_lo, s6
	s_waitcnt vmcnt(0)
	ds_store_b32 v12, v22
	; wave barrier
	ds_load_b32 v22, v12
	v_mov_b32_e32 v23, 0x80
	s_add_u32 s14, s20, s16
	s_addc_u32 s15, s21, 0
	s_waitcnt lgkmcnt(0)
	s_barrier
	buffer_gl0_inv
	s_and_saveexec_b32 s6, s5
	s_cbranch_execz .LBB177_7
; %bb.6:                                ;   in Loop: Header=BB177_3 Depth=1
	v_add_co_u32 v23, s7, s14, v4
	s_delay_alu instid0(VALU_DEP_1) | instskip(NEXT) | instid1(VALU_DEP_2)
	v_add_co_ci_u32_e64 v24, null, s15, 0, s7
	v_add_co_u32 v23, vcc_lo, v23, v5
	s_delay_alu instid0(VALU_DEP_2)
	v_add_co_ci_u32_e32 v24, vcc_lo, 0, v24, vcc_lo
	global_load_u8 v23, v[23:24], off
.LBB177_7:                              ;   in Loop: Header=BB177_3 Depth=1
	s_or_b32 exec_lo, exec_lo, s6
	s_waitcnt vmcnt(0)
	ds_store_b8 v8, v23 offset:2064
	; wave barrier
	ds_load_u8 v24, v8 offset:2064
	s_lshl_b64 s[26:27], s[16:17], 2
	v_mov_b32_e32 v23, 0
	s_add_u32 s7, s12, s26
	s_addc_u32 s25, s13, s27
	s_waitcnt lgkmcnt(0)
	s_barrier
	buffer_gl0_inv
	s_and_saveexec_b32 s6, s5
	s_cbranch_execz .LBB177_9
; %bb.8:                                ;   in Loop: Header=BB177_3 Depth=1
	v_add_co_u32 v23, s26, s7, v0
	s_delay_alu instid0(VALU_DEP_1) | instskip(NEXT) | instid1(VALU_DEP_2)
	v_add_co_ci_u32_e64 v26, null, s25, 0, s26
	v_add_co_u32 v25, vcc_lo, v23, v19
	s_delay_alu instid0(VALU_DEP_2)
	v_add_co_ci_u32_e32 v26, vcc_lo, 0, v26, vcc_lo
	global_load_b32 v23, v[25:26], off
.LBB177_9:                              ;   in Loop: Header=BB177_3 Depth=1
	s_or_b32 exec_lo, exec_lo, s6
	s_waitcnt vmcnt(0)
	ds_store_b32 v12, v23
	; wave barrier
	ds_load_b32 v23, v12
	v_cmp_neq_f32_e32 vcc_lo, 0, v22
	s_or_b32 s6, s11, vcc_lo
	s_delay_alu instid0(SALU_CYCLE_1)
	s_and_saveexec_b32 s26, s6
	s_cbranch_execz .LBB177_11
; %bb.10:                               ;   in Loop: Header=BB177_3 Depth=1
	s_lshr_b32 s27, s16, 6
	s_delay_alu instid0(SALU_CYCLE_1) | instskip(NEXT) | instid1(VALU_DEP_1)
	v_dual_mov_b32 v21, s27 :: v_dual_and_b32 v24, 0xff, v24
	v_dual_mul_f32 v25, s9, v22 :: v_dual_lshlrev_b32 v24, 2, v24
	global_load_b32 v21, v21, s[18:19]
	s_waitcnt lgkmcnt(0)
	v_fma_f32 v26, s8, v23, v25
	v_mad_u32_u24 v24, 0x404, v3, v24
	s_delay_alu instid0(VALU_DEP_2) | instskip(SKIP_3) | instid1(VALU_DEP_1)
	v_cndmask_b32_e64 v25, v25, v26, s0
	ds_load_b32 v24, v24
	s_waitcnt vmcnt(0) lgkmcnt(0)
	v_mul_f32_e32 v21, v24, v21
	v_fmac_f32_e32 v21, v25, v25
.LBB177_11:                             ;   in Loop: Header=BB177_3 Depth=1
	s_or_b32 exec_lo, exec_lo, s26
	s_delay_alu instid0(VALU_DEP_1) | instskip(NEXT) | instid1(VALU_DEP_1)
	v_max_f32_e64 v24, |v21|, |v21|
	v_max_f32_e32 v24, 0xff7fffff, v24
	s_delay_alu instid0(VALU_DEP_1) | instskip(NEXT) | instid1(VALU_DEP_1)
	v_mov_b32_dpp v25, v24 quad_perm:[1,0,3,2] row_mask:0xf bank_mask:0xf
	v_cmp_gt_f32_e32 vcc_lo, v24, v25
	v_cndmask_b32_e32 v24, v25, v24, vcc_lo
	s_delay_alu instid0(VALU_DEP_1) | instskip(NEXT) | instid1(VALU_DEP_1)
	v_mov_b32_dpp v25, v24 quad_perm:[2,3,0,1] row_mask:0xf bank_mask:0xf
	v_cmp_gt_f32_e32 vcc_lo, v24, v25
	v_cndmask_b32_e32 v24, v25, v24, vcc_lo
	s_delay_alu instid0(VALU_DEP_1) | instskip(NEXT) | instid1(VALU_DEP_1)
	v_mov_b32_dpp v25, v24 row_ror:4 row_mask:0xf bank_mask:0xf
	v_cmp_gt_f32_e32 vcc_lo, v24, v25
	v_cndmask_b32_e32 v24, v25, v24, vcc_lo
	s_delay_alu instid0(VALU_DEP_1) | instskip(NEXT) | instid1(VALU_DEP_1)
	v_mov_b32_dpp v25, v24 row_ror:8 row_mask:0xf bank_mask:0xf
	v_cmp_gt_f32_e32 vcc_lo, v24, v25
	v_cndmask_b32_e32 v24, v25, v24, vcc_lo
	ds_swizzle_b32 v25, v24 offset:swizzle(BROADCAST,32,15)
	s_waitcnt lgkmcnt(0)
	v_cmp_gt_f32_e32 vcc_lo, v24, v25
	v_cndmask_b32_e32 v24, v25, v24, vcc_lo
	ds_bpermute_b32 v24, v13, v24
	s_and_saveexec_b32 s26, s1
	s_delay_alu instid0(SALU_CYCLE_1)
	s_xor_b32 s26, exec_lo, s26
	s_cbranch_execz .LBB177_13
; %bb.12:                               ;   in Loop: Header=BB177_3 Depth=1
	s_waitcnt lgkmcnt(0)
	ds_store_b32 v14, v24
.LBB177_13:                             ;   in Loop: Header=BB177_3 Depth=1
	s_or_b32 exec_lo, exec_lo, s26
	s_waitcnt lgkmcnt(0)
	s_barrier
	buffer_gl0_inv
	s_and_saveexec_b32 s26, s2
	s_cbranch_execz .LBB177_15
; %bb.14:                               ;   in Loop: Header=BB177_3 Depth=1
	ds_load_b32 v24, v15
	s_waitcnt lgkmcnt(0)
	ds_bpermute_b32 v25, v16, v24
	s_waitcnt lgkmcnt(0)
	v_cmp_lt_f32_e32 vcc_lo, v24, v25
	v_cndmask_b32_e32 v24, v24, v25, vcc_lo
	ds_bpermute_b32 v25, v17, v24
	s_waitcnt lgkmcnt(0)
	v_cmp_lt_f32_e32 vcc_lo, v24, v25
	v_cndmask_b32_e32 v24, v24, v25, vcc_lo
	;; [unrolled: 4-line block ×3, first 2 shown]
.LBB177_15:                             ;   in Loop: Header=BB177_3 Depth=1
	s_or_b32 exec_lo, exec_lo, s26
	s_and_saveexec_b32 s26, s3
	s_cbranch_execz .LBB177_17
; %bb.16:                               ;   in Loop: Header=BB177_3 Depth=1
	ds_store_b32 v6, v24 offset:2056
.LBB177_17:                             ;   in Loop: Header=BB177_3 Depth=1
	s_or_b32 exec_lo, exec_lo, s26
	s_waitcnt lgkmcnt(0)
	s_barrier
	buffer_gl0_inv
	s_and_saveexec_b32 s26, s4
	s_delay_alu instid0(SALU_CYCLE_1)
	s_xor_b32 s26, exec_lo, s26
	s_cbranch_execnz .LBB177_41
; %bb.18:                               ;   in Loop: Header=BB177_3 Depth=1
	s_and_not1_saveexec_b32 s26, s26
	s_cbranch_execnz .LBB177_42
.LBB177_19:                             ;   in Loop: Header=BB177_3 Depth=1
	s_or_b32 exec_lo, exec_lo, s26
	s_and_saveexec_b32 s26, s6
	s_cbranch_execz .LBB177_21
.LBB177_20:                             ;   in Loop: Header=BB177_3 Depth=1
	v_mul_f32_e32 v25, 0x4f800000, v21
	v_cmp_gt_f32_e32 vcc_lo, 0xf800000, v21
	s_delay_alu instid0(VALU_DEP_2) | instskip(NEXT) | instid1(VALU_DEP_1)
	v_cndmask_b32_e32 v25, v21, v25, vcc_lo
	v_sqrt_f32_e32 v26, v25
	s_waitcnt_depctr 0xfff
	v_add_nc_u32_e32 v27, -1, v26
	v_add_nc_u32_e32 v28, 1, v26
	s_delay_alu instid0(VALU_DEP_2) | instskip(NEXT) | instid1(VALU_DEP_2)
	v_fma_f32 v29, -v27, v26, v25
	v_fma_f32 v30, -v28, v26, v25
	s_delay_alu instid0(VALU_DEP_2) | instskip(NEXT) | instid1(VALU_DEP_1)
	v_cmp_ge_f32_e64 s6, 0, v29
	v_cndmask_b32_e64 v26, v26, v27, s6
	s_delay_alu instid0(VALU_DEP_3) | instskip(NEXT) | instid1(VALU_DEP_1)
	v_cmp_lt_f32_e64 s6, 0, v30
	v_cndmask_b32_e64 v26, v26, v28, s6
	s_delay_alu instid0(VALU_DEP_1) | instskip(NEXT) | instid1(VALU_DEP_1)
	v_mul_f32_e32 v27, 0x37800000, v26
	v_cndmask_b32_e32 v26, v26, v27, vcc_lo
	v_cmp_class_f32_e64 vcc_lo, v25, 0x260
	s_delay_alu instid0(VALU_DEP_2) | instskip(NEXT) | instid1(VALU_DEP_1)
	v_cndmask_b32_e32 v25, v26, v25, vcc_lo
	v_add_f32_e32 v25, s23, v25
	s_delay_alu instid0(VALU_DEP_1) | instskip(NEXT) | instid1(VALU_DEP_1)
	v_div_scale_f32 v26, null, v25, v25, v22
	v_rcp_f32_e32 v27, v26
	s_waitcnt_depctr 0xfff
	v_fma_f32 v28, -v26, v27, 1.0
	s_delay_alu instid0(VALU_DEP_1) | instskip(SKIP_1) | instid1(VALU_DEP_1)
	v_fmac_f32_e32 v27, v28, v27
	v_div_scale_f32 v28, vcc_lo, v22, v25, v22
	v_mul_f32_e32 v29, v28, v27
	s_delay_alu instid0(VALU_DEP_1) | instskip(NEXT) | instid1(VALU_DEP_1)
	v_fma_f32 v30, -v26, v29, v28
	v_fmac_f32_e32 v29, v30, v27
	s_delay_alu instid0(VALU_DEP_1) | instskip(NEXT) | instid1(VALU_DEP_1)
	v_fma_f32 v26, -v26, v29, v28
	v_div_fmas_f32 v26, v26, v27, v29
	s_delay_alu instid0(VALU_DEP_1) | instskip(NEXT) | instid1(VALU_DEP_1)
	v_div_fixup_f32 v22, v26, v25, v22
	v_fma_f32 v23, -v22, s24, v23
.LBB177_21:                             ;   in Loop: Header=BB177_3 Depth=1
	s_or_b32 exec_lo, exec_lo, s26
	s_waitcnt lgkmcnt(0)
	s_waitcnt_vscnt null, 0x0
	s_barrier
	buffer_gl0_inv
	ds_store_b32 v12, v23
	; wave barrier
	s_and_saveexec_b32 s6, s5
	s_cbranch_execz .LBB177_23
; %bb.22:                               ;   in Loop: Header=BB177_3 Depth=1
	ds_load_b32 v25, v12
	v_add_co_u32 v22, s7, s7, v0
	s_delay_alu instid0(VALU_DEP_1) | instskip(NEXT) | instid1(VALU_DEP_2)
	v_add_co_ci_u32_e64 v23, null, s25, 0, s7
	v_add_co_u32 v22, vcc_lo, v22, v19
	s_delay_alu instid0(VALU_DEP_2)
	v_add_co_ci_u32_e32 v23, vcc_lo, 0, v23, vcc_lo
	s_waitcnt lgkmcnt(0)
	global_store_b32 v[22:23], v25, off
.LBB177_23:                             ;   in Loop: Header=BB177_3 Depth=1
	s_or_b32 exec_lo, exec_lo, s6
	v_div_scale_f32 v22, null, v24, v24, v21
	v_div_scale_f32 v26, vcc_lo, v21, v24, v21
	v_mov_b32_e32 v29, -16
	s_delay_alu instid0(VALU_DEP_3) | instskip(SKIP_3) | instid1(VALU_DEP_1)
	v_rcp_f32_e32 v23, v22
	s_mov_b32 s25, exec_lo
	s_waitcnt_depctr 0xfff
	v_fma_f32 v25, -v22, v23, 1.0
	v_fmac_f32_e32 v23, v25, v23
	s_delay_alu instid0(VALU_DEP_1) | instskip(NEXT) | instid1(VALU_DEP_1)
	v_mul_f32_e32 v25, v26, v23
	v_fma_f32 v27, -v22, v25, v26
	s_delay_alu instid0(VALU_DEP_1) | instskip(NEXT) | instid1(VALU_DEP_1)
	v_fmac_f32_e32 v25, v27, v23
	v_fma_f32 v22, -v22, v25, v26
	s_delay_alu instid0(VALU_DEP_1) | instskip(NEXT) | instid1(VALU_DEP_1)
	v_div_fmas_f32 v22, v22, v23, v25
	v_div_fixup_f32 v22, v22, v24, v21
	s_delay_alu instid0(VALU_DEP_1) | instskip(SKIP_3) | instid1(VALU_DEP_3)
	v_cmp_lt_f32_e32 vcc_lo, v2, v22
	v_cndmask_b32_e64 v23, 0, 1, vcc_lo
	v_cndmask_b32_e64 v27, 63, 0xbf, vcc_lo
	v_cndmask_b32_e32 v31, -1.0, v2, vcc_lo
	v_lshlrev_b32_e32 v23, 1, v23
	s_delay_alu instid0(VALU_DEP_1) | instskip(NEXT) | instid1(VALU_DEP_1)
	v_cmp_eq_u32_e64 s6, 1, v23
	v_cndmask_b32_e64 v24, v1, v2, s6
	v_cmp_eq_u32_e64 s6, 2, v23
	s_delay_alu instid0(VALU_DEP_1) | instskip(SKIP_1) | instid1(VALU_DEP_2)
	v_cndmask_b32_e64 v28, v24, v9, s6
	v_cndmask_b32_e64 v24, 0, 0x7f, vcc_lo
	v_cmp_lt_f32_e64 s6, v28, v22
	s_delay_alu instid0(VALU_DEP_1) | instskip(NEXT) | instid1(VALU_DEP_3)
	v_cndmask_b32_e64 v23, 0xffffffe0, 32, s6
	v_cndmask_b32_e64 v30, v24, v27, s6
	;; [unrolled: 1-line block ×3, first 2 shown]
	s_delay_alu instid0(VALU_DEP_3) | instskip(NEXT) | instid1(VALU_DEP_1)
	v_add_nc_u32_e32 v26, v23, v27
	v_lshl_add_u32 v25, v26, 2, v7
	v_mov_b32_e32 v24, v26
	ds_load_b32 v23, v25
	s_waitcnt lgkmcnt(0)
	v_cmpx_lt_f32_e32 v23, v22
; %bb.24:                               ;   in Loop: Header=BB177_3 Depth=1
	v_cndmask_b32_e64 v24, v2, 1.0, vcc_lo
	v_dual_cndmask_b32 v29, 0x7f, v20 :: v_dual_mov_b32 v30, v26
	v_mov_b32_e32 v31, v23
	s_delay_alu instid0(VALU_DEP_3) | instskip(NEXT) | instid1(VALU_DEP_3)
	v_cndmask_b32_e64 v28, v28, v24, s6
	v_cndmask_b32_e64 v24, v27, v29, s6
	v_mov_b32_e32 v29, 16
	s_delay_alu instid0(VALU_DEP_3)
	v_mov_b32_e32 v23, v28
; %bb.25:                               ;   in Loop: Header=BB177_3 Depth=1
	s_or_b32 exec_lo, exec_lo, s25
	s_delay_alu instid0(VALU_DEP_2)
	v_lshl_add_u32 v25, v29, 2, v25
	v_dual_mov_b32 v29, -4 :: v_dual_add_nc_u32 v34, v29, v26
	s_mov_b32 s7, exec_lo
	ds_load_b32 v33, v25
	s_waitcnt lgkmcnt(0)
	v_cmp_lt_f32_e32 vcc_lo, v33, v22
	v_cndmask_b32_e64 v27, -8, 8, vcc_lo
	v_cndmask_b32_e32 v30, v30, v34, vcc_lo
	s_delay_alu instid0(VALU_DEP_2)
	v_lshl_add_u32 v28, v27, 2, v25
	v_add_nc_u32_e32 v26, v27, v34
	v_cndmask_b32_e32 v32, v31, v33, vcc_lo
	ds_load_b32 v25, v28
	v_mov_b32_e32 v27, v26
	s_waitcnt lgkmcnt(0)
	v_cmpx_lt_f32_e32 v25, v22
; %bb.26:                               ;   in Loop: Header=BB177_3 Depth=1
	v_dual_cndmask_b32 v23, v33, v23 :: v_dual_mov_b32 v30, v26
	v_dual_cndmask_b32 v27, v34, v24 :: v_dual_mov_b32 v32, v25
	v_mov_b32_e32 v29, 4
	s_delay_alu instid0(VALU_DEP_3)
	v_mov_b32_e32 v25, v23
; %bb.27:                               ;   in Loop: Header=BB177_3 Depth=1
	s_or_b32 exec_lo, exec_lo, s7
	s_delay_alu instid0(VALU_DEP_2)
	v_lshl_add_u32 v23, v29, 2, v28
	v_add_nc_u32_e32 v35, v29, v26
	s_mov_b32 s7, exec_lo
	ds_load_b32 v34, v23
	s_waitcnt lgkmcnt(0)
	v_cmp_lt_f32_e32 vcc_lo, v34, v22
	v_cndmask_b32_e64 v28, -2, 2, vcc_lo
	v_cndmask_b32_e32 v29, v32, v34, vcc_lo
	s_delay_alu instid0(VALU_DEP_2)
	v_lshl_add_u32 v23, v28, 2, v23
	v_add_nc_u32_e32 v31, v28, v35
	ds_load_b32 v24, v23
	v_dual_mov_b32 v26, v31 :: v_dual_mov_b32 v33, -1
	v_cndmask_b32_e32 v28, v30, v35, vcc_lo
	s_waitcnt lgkmcnt(0)
	v_cmpx_lt_f32_e32 v24, v22
; %bb.28:                               ;   in Loop: Header=BB177_3 Depth=1
	v_dual_cndmask_b32 v25, v34, v25 :: v_dual_cndmask_b32 v26, v35, v27
	v_dual_mov_b32 v33, 1 :: v_dual_mov_b32 v28, v31
	s_delay_alu instid0(VALU_DEP_2)
	v_dual_mov_b32 v29, v24 :: v_dual_mov_b32 v24, v25
; %bb.29:                               ;   in Loop: Header=BB177_3 Depth=1
	s_or_b32 exec_lo, exec_lo, s7
	s_delay_alu instid0(VALU_DEP_2)
	v_lshl_add_u32 v23, v33, 2, v23
	v_add_nc_u32_e32 v25, v33, v31
	s_mov_b32 s6, exec_lo
	ds_load_b32 v27, v23
                                        ; implicit-def: $vgpr23
	s_waitcnt lgkmcnt(0)
	v_cmpx_nlt_f32_e32 v27, v22
	s_xor_b32 s6, exec_lo, s6
; %bb.30:                               ;   in Loop: Header=BB177_3 Depth=1
	v_add_f32_e32 v23, v29, v27
                                        ; implicit-def: $vgpr24
                                        ; implicit-def: $vgpr27
                                        ; implicit-def: $vgpr26
	s_delay_alu instid0(VALU_DEP_1) | instskip(NEXT) | instid1(VALU_DEP_1)
	v_mul_f32_e32 v23, 0.5, v23
	v_cmp_gt_f32_e32 vcc_lo, v23, v22
                                        ; implicit-def: $vgpr22
	v_cndmask_b32_e32 v23, v25, v28, vcc_lo
                                        ; implicit-def: $vgpr25
; %bb.31:                               ;   in Loop: Header=BB177_3 Depth=1
	s_and_not1_saveexec_b32 s6, s6
; %bb.32:                               ;   in Loop: Header=BB177_3 Depth=1
	v_add_f32_e32 v23, v24, v27
	s_delay_alu instid0(VALU_DEP_1) | instskip(NEXT) | instid1(VALU_DEP_1)
	v_mul_f32_e32 v23, 0.5, v23
	v_cmp_lt_f32_e32 vcc_lo, v23, v22
	v_cndmask_b32_e32 v23, v25, v26, vcc_lo
; %bb.33:                               ;   in Loop: Header=BB177_3 Depth=1
	s_or_b32 exec_lo, exec_lo, s6
	s_delay_alu instid0(VALU_DEP_1) | instskip(SKIP_1) | instid1(VALU_DEP_1)
	v_lshlrev_b32_e32 v22, 2, v23
	s_mov_b32 s6, exec_lo
	v_mad_u32_u24 v22, 0x404, v3, v22
	ds_load_b32 v22, v22
	s_waitcnt lgkmcnt(0)
	v_xor_b32_e32 v22, v22, v21
	s_delay_alu instid0(VALU_DEP_1)
	v_cmpx_gt_i32_e32 0, v22
	s_cbranch_execz .LBB177_39
; %bb.34:                               ;   in Loop: Header=BB177_3 Depth=1
	s_mov_b32 s7, exec_lo
	v_cmpx_nlt_f32_e32 0, v21
	s_xor_b32 s7, exec_lo, s7
; %bb.35:                               ;   in Loop: Header=BB177_3 Depth=1
	v_add_nc_u16 v23, v23, -1
; %bb.36:                               ;   in Loop: Header=BB177_3 Depth=1
	s_and_not1_saveexec_b32 s7, s7
; %bb.37:                               ;   in Loop: Header=BB177_3 Depth=1
	s_delay_alu instid0(VALU_DEP_1)
	v_add_nc_u16 v23, v23, 1
; %bb.38:                               ;   in Loop: Header=BB177_3 Depth=1
	s_or_b32 exec_lo, exec_lo, s7
.LBB177_39:                             ;   in Loop: Header=BB177_3 Depth=1
	s_delay_alu instid0(SALU_CYCLE_1)
	s_or_b32 exec_lo, exec_lo, s6
	s_waitcnt_vscnt null, 0x0
	s_barrier
	buffer_gl0_inv
	ds_store_b8 v8, v23 offset:2064
	; wave barrier
	s_and_saveexec_b32 s6, s5
	s_cbranch_execz .LBB177_2
; %bb.40:                               ;   in Loop: Header=BB177_3 Depth=1
	ds_load_u8 v24, v8 offset:2064
	v_add_co_u32 v22, s5, s14, v4
	s_delay_alu instid0(VALU_DEP_1) | instskip(NEXT) | instid1(VALU_DEP_2)
	v_add_co_ci_u32_e64 v23, null, s15, 0, s5
	v_add_co_u32 v22, vcc_lo, v22, v5
	s_delay_alu instid0(VALU_DEP_2)
	v_add_co_ci_u32_e32 v23, vcc_lo, 0, v23, vcc_lo
	s_waitcnt lgkmcnt(0)
	global_store_b8 v[22:23], v24, off
	s_branch .LBB177_2
.LBB177_41:                             ;   in Loop: Header=BB177_3 Depth=1
	ds_load_b32 v24, v6 offset:2056
	s_and_not1_saveexec_b32 s26, s26
	s_cbranch_execz .LBB177_19
.LBB177_42:                             ;   in Loop: Header=BB177_3 Depth=1
	s_lshr_b32 s27, s16, 6
	s_delay_alu instid0(SALU_CYCLE_1)
	v_mov_b32_e32 v25, s27
	s_waitcnt lgkmcnt(0)
	global_store_b32 v25, v24, s[18:19]
	s_or_b32 exec_lo, exec_lo, s26
	s_and_saveexec_b32 s26, s6
	s_cbranch_execnz .LBB177_20
	s_branch .LBB177_21
.LBB177_43:
	s_nop 0
	s_sendmsg sendmsg(MSG_DEALLOC_VGPRS)
	s_endpgm
	.section	.rodata,"a",@progbits
	.p2align	6, 0x0
	.amdhsa_kernel _Z35kOptimizerStatic8bit1StateBlockwiseIfLi4ELi256ELi1EEvPT_S1_PhfffifPfS3_ffbi
		.amdhsa_group_segment_fixed_size 3120
		.amdhsa_private_segment_fixed_size 0
		.amdhsa_kernarg_size 336
		.amdhsa_user_sgpr_count 15
		.amdhsa_user_sgpr_dispatch_ptr 0
		.amdhsa_user_sgpr_queue_ptr 0
		.amdhsa_user_sgpr_kernarg_segment_ptr 1
		.amdhsa_user_sgpr_dispatch_id 0
		.amdhsa_user_sgpr_private_segment_size 0
		.amdhsa_wavefront_size32 1
		.amdhsa_uses_dynamic_stack 0
		.amdhsa_enable_private_segment 0
		.amdhsa_system_sgpr_workgroup_id_x 1
		.amdhsa_system_sgpr_workgroup_id_y 0
		.amdhsa_system_sgpr_workgroup_id_z 0
		.amdhsa_system_sgpr_workgroup_info 0
		.amdhsa_system_vgpr_workitem_id 0
		.amdhsa_next_free_vgpr 36
		.amdhsa_next_free_sgpr 28
		.amdhsa_reserve_vcc 1
		.amdhsa_float_round_mode_32 0
		.amdhsa_float_round_mode_16_64 0
		.amdhsa_float_denorm_mode_32 3
		.amdhsa_float_denorm_mode_16_64 3
		.amdhsa_dx10_clamp 1
		.amdhsa_ieee_mode 1
		.amdhsa_fp16_overflow 0
		.amdhsa_workgroup_processor_mode 1
		.amdhsa_memory_ordered 1
		.amdhsa_forward_progress 0
		.amdhsa_shared_vgpr_count 0
		.amdhsa_exception_fp_ieee_invalid_op 0
		.amdhsa_exception_fp_denorm_src 0
		.amdhsa_exception_fp_ieee_div_zero 0
		.amdhsa_exception_fp_ieee_overflow 0
		.amdhsa_exception_fp_ieee_underflow 0
		.amdhsa_exception_fp_ieee_inexact 0
		.amdhsa_exception_int_div_zero 0
	.end_amdhsa_kernel
	.section	.text._Z35kOptimizerStatic8bit1StateBlockwiseIfLi4ELi256ELi1EEvPT_S1_PhfffifPfS3_ffbi,"axG",@progbits,_Z35kOptimizerStatic8bit1StateBlockwiseIfLi4ELi256ELi1EEvPT_S1_PhfffifPfS3_ffbi,comdat
.Lfunc_end177:
	.size	_Z35kOptimizerStatic8bit1StateBlockwiseIfLi4ELi256ELi1EEvPT_S1_PhfffifPfS3_ffbi, .Lfunc_end177-_Z35kOptimizerStatic8bit1StateBlockwiseIfLi4ELi256ELi1EEvPT_S1_PhfffifPfS3_ffbi
                                        ; -- End function
	.section	.AMDGPU.csdata,"",@progbits
; Kernel info:
; codeLenInByte = 2496
; NumSgprs: 30
; NumVgprs: 36
; ScratchSize: 0
; MemoryBound: 0
; FloatMode: 240
; IeeeMode: 1
; LDSByteSize: 3120 bytes/workgroup (compile time only)
; SGPRBlocks: 3
; VGPRBlocks: 4
; NumSGPRsForWavesPerEU: 30
; NumVGPRsForWavesPerEU: 36
; Occupancy: 16
; WaveLimiterHint : 0
; COMPUTE_PGM_RSRC2:SCRATCH_EN: 0
; COMPUTE_PGM_RSRC2:USER_SGPR: 15
; COMPUTE_PGM_RSRC2:TRAP_HANDLER: 0
; COMPUTE_PGM_RSRC2:TGID_X_EN: 1
; COMPUTE_PGM_RSRC2:TGID_Y_EN: 0
; COMPUTE_PGM_RSRC2:TGID_Z_EN: 0
; COMPUTE_PGM_RSRC2:TIDIG_COMP_CNT: 0
	.section	.text._Z35kOptimizerStatic8bit1StateBlockwiseI6__halfLi4ELi256ELi1EEvPT_S2_PhfffifPfS4_ffbi,"axG",@progbits,_Z35kOptimizerStatic8bit1StateBlockwiseI6__halfLi4ELi256ELi1EEvPT_S2_PhfffifPfS4_ffbi,comdat
